;; amdgpu-corpus repo=LLNL/RAJAPerf kind=compiled arch=gfx906 opt=O3
	.amdgcn_target "amdgcn-amd-amdhsa--gfx906"
	.amdhsa_code_object_version 6
	.section	.text._ZN8rajaperf4apps14Convection3DPAILm64EEEvPdS2_S2_S2_S2_S2_,"axG",@progbits,_ZN8rajaperf4apps14Convection3DPAILm64EEEvPdS2_S2_S2_S2_S2_,comdat
	.protected	_ZN8rajaperf4apps14Convection3DPAILm64EEEvPdS2_S2_S2_S2_S2_ ; -- Begin function _ZN8rajaperf4apps14Convection3DPAILm64EEEvPdS2_S2_S2_S2_S2_
	.globl	_ZN8rajaperf4apps14Convection3DPAILm64EEEvPdS2_S2_S2_S2_S2_
	.p2align	8
	.type	_ZN8rajaperf4apps14Convection3DPAILm64EEEvPdS2_S2_S2_S2_S2_,@function
_ZN8rajaperf4apps14Convection3DPAILm64EEEvPdS2_S2_S2_S2_S2_: ; @_ZN8rajaperf4apps14Convection3DPAILm64EEEvPdS2_S2_S2_S2_S2_
; %bb.0:
	s_load_dwordx8 s[8:15], s[4:5], 0x0
	s_load_dwordx4 s[16:19], s[4:5], 0x20
	v_mov_b32_e32 v3, v0
	v_cmp_lt_u32_e64 s[0:1], 2, v2
	v_cmp_gt_u32_e32 vcc, 3, v2
	v_max_u32_e32 v0, v1, v3
	s_and_saveexec_b64 s[4:5], vcc
	s_cbranch_execz .LBB0_3
; %bb.1:
	v_cmp_gt_u32_e64 s[2:3], 3, v0
	s_and_b64 exec, exec, s[2:3]
	s_cbranch_execz .LBB0_3
; %bb.2:
	s_mul_i32 s2, s6, 0xd8
	s_mul_hi_u32 s3, s6, 0xd8
	s_waitcnt lgkmcnt(0)
	s_add_u32 s2, s16, s2
	s_addc_u32 s3, s17, s3
	v_mov_b32_e32 v5, s3
	s_movk_i32 s7, 0x48
	v_mov_b32_e32 v4, s2
	v_mad_u64_u32 v[5:6], s[2:3], v2, s7, v[4:5]
	v_mov_b32_e32 v4, 0
	v_mul_u32_u24_e32 v7, 24, v1
	v_add_co_u32_e64 v8, s[2:3], v5, v7
	v_lshlrev_b64 v[4:5], 3, v[3:4]
	v_addc_co_u32_e64 v6, s[2:3], 0, v6, s[2:3]
	v_add_co_u32_e64 v4, s[2:3], v8, v4
	v_addc_co_u32_e64 v5, s[2:3], v6, v5, s[2:3]
	global_load_dwordx2 v[4:5], v[4:5], off
	v_mul_u32_u24_e32 v6, 0x48, v2
	v_lshlrev_b32_e32 v8, 3, v3
	v_add3_u32 v6, v6, v7, v8
	s_waitcnt vmcnt(0)
	ds_write_b64 v6, v[4:5]
.LBB0_3:
	s_or_b64 exec, exec, s[4:5]
	s_waitcnt lgkmcnt(0)
	; wave barrier
	s_and_saveexec_b64 s[2:3], vcc
	s_xor_b64 s[16:17], exec, s[2:3]
	s_cbranch_execz .LBB0_7
; %bb.4:
	v_cmp_gt_u32_e64 s[2:3], 3, v1
	v_cmp_gt_u32_e64 s[4:5], 4, v3
	s_and_b64 s[2:3], s[2:3], s[4:5]
	s_and_saveexec_b64 s[4:5], s[2:3]
	s_cbranch_execz .LBB0_6
; %bb.5:
	v_mov_b32_e32 v4, 0
	v_lshlrev_b64 v[4:5], 3, v[3:4]
	v_mov_b32_e32 v7, s9
	v_add_co_u32_e64 v6, s[2:3], s8, v4
	v_addc_co_u32_e64 v7, s[2:3], v7, v5, s[2:3]
	global_load_dwordx2 v[8:9], v[6:7], off
	v_mov_b32_e32 v10, s13
	v_add_co_u32_e64 v4, s[2:3], s12, v4
	v_addc_co_u32_e64 v5, s[2:3], v10, v5, s[2:3]
	global_load_dwordx2 v[10:11], v[4:5], off
	global_load_dwordx2 v[12:13], v[6:7], off offset:32
	global_load_dwordx2 v[14:15], v[4:5], off offset:32
	;; [unrolled: 1-line block ×4, first 2 shown]
	v_mul_u32_u24_e32 v4, 24, v1
	s_movk_i32 s2, 0x48
	v_mad_u32_u24 v20, v2, s2, v4
	ds_read2_b64 v[4:7], v20 offset1:1
	ds_read_b64 v[20:21], v20 offset:16
	s_waitcnt vmcnt(5) lgkmcnt(1)
	v_fma_f64 v[8:9], v[8:9], v[4:5], 0
	s_waitcnt vmcnt(4)
	v_fma_f64 v[4:5], v[10:11], v[4:5], 0
	v_lshlrev_b32_e32 v10, 3, v3
	s_waitcnt vmcnt(3)
	v_fma_f64 v[8:9], v[12:13], v[6:7], v[8:9]
	s_waitcnt vmcnt(2)
	v_fma_f64 v[4:5], v[14:15], v[6:7], v[4:5]
	s_waitcnt vmcnt(1) lgkmcnt(0)
	v_fma_f64 v[6:7], v[16:17], v[20:21], v[8:9]
	v_mul_u32_u24_e32 v8, 0x60, v2
	s_waitcnt vmcnt(0)
	v_fma_f64 v[4:5], v[18:19], v[20:21], v[4:5]
	v_lshlrev_b32_e32 v9, 5, v1
	v_add3_u32 v8, v8, v9, v10
	ds_write2st64_b64 v8, v[6:7], v[4:5] offset0:1 offset1:2
.LBB0_6:
	s_or_b64 exec, exec, s[4:5]
.LBB0_7:
	s_andn2_saveexec_b64 s[2:3], s[16:17]
	s_or_b64 exec, exec, s[2:3]
	s_waitcnt lgkmcnt(0)
	; wave barrier
	s_and_saveexec_b64 s[4:5], vcc
	s_cbranch_execz .LBB0_10
; %bb.8:
	v_or_b32_e32 v4, v3, v1
	v_cmp_gt_u32_e64 s[2:3], 4, v4
	s_and_b64 exec, exec, s[2:3]
	s_cbranch_execz .LBB0_10
; %bb.9:
	v_lshlrev_b32_e32 v4, 3, v1
	global_load_dwordx2 v[12:13], v4, s[8:9]
	global_load_dwordx2 v[14:15], v4, s[12:13]
	global_load_dwordx2 v[16:17], v4, s[8:9] offset:32
	global_load_dwordx2 v[18:19], v4, s[12:13] offset:32
	;; [unrolled: 1-line block ×4, first 2 shown]
	v_lshlrev_b32_e32 v26, 3, v3
	s_movk_i32 s2, 0x60
	v_mad_u32_u24 v27, v2, s2, v26
	ds_read2_b64 v[4:7], v27 offset0:64 offset1:68
	ds_read2_b64 v[8:11], v27 offset0:72 offset1:128
	s_waitcnt vmcnt(5) lgkmcnt(1)
	v_fma_f64 v[24:25], v[12:13], v[4:5], 0
	s_waitcnt vmcnt(4)
	v_fma_f64 v[4:5], v[14:15], v[4:5], 0
	s_waitcnt lgkmcnt(0)
	v_fma_f64 v[14:15], v[12:13], v[10:11], 0
	ds_read2_b64 v[10:13], v27 offset0:132 offset1:136
	s_waitcnt vmcnt(3)
	v_fma_f64 v[24:25], v[16:17], v[6:7], v[24:25]
	s_waitcnt vmcnt(2)
	v_fma_f64 v[4:5], v[18:19], v[6:7], v[4:5]
	s_waitcnt lgkmcnt(0)
	v_fma_f64 v[6:7], v[16:17], v[10:11], v[14:15]
	s_waitcnt vmcnt(1)
	v_fma_f64 v[10:11], v[20:21], v[8:9], v[24:25]
	s_waitcnt vmcnt(0)
	v_fma_f64 v[4:5], v[22:23], v[8:9], v[4:5]
	v_fma_f64 v[6:7], v[20:21], v[12:13], v[6:7]
	v_lshlrev_b32_e32 v8, 7, v2
	v_lshlrev_b32_e32 v9, 5, v1
	v_add3_u32 v8, v8, v26, v9
	ds_write2st64_b64 v8, v[10:11], v[4:5] offset0:3 offset1:4
	ds_write_b64 v8, v[6:7] offset:2560
.LBB0_10:
	s_or_b64 exec, exec, s[4:5]
	v_cmp_gt_u32_e64 s[2:3], 4, v3
	s_waitcnt lgkmcnt(0)
	; wave barrier
	s_and_saveexec_b64 s[16:17], s[2:3]
	s_cbranch_execz .LBB0_13
; %bb.11:
	v_or_b32_e32 v4, v1, v2
	v_cmp_gt_u32_e64 s[4:5], 4, v4
	s_and_b64 exec, exec, s[4:5]
	s_cbranch_execz .LBB0_13
; %bb.12:
	v_lshlrev_b32_e32 v4, 3, v2
	global_load_dwordx2 v[16:17], v4, s[12:13]
	global_load_dwordx2 v[18:19], v4, s[8:9]
	global_load_dwordx2 v[20:21], v4, s[12:13] offset:32
	global_load_dwordx2 v[22:23], v4, s[8:9] offset:32
	;; [unrolled: 1-line block ×4, first 2 shown]
	v_lshlrev_b32_e32 v4, 5, v1
	v_lshl_add_u32 v28, v3, 3, v4
	ds_read2_b64 v[4:7], v28 offset0:192 offset1:208
	v_add_u32_e32 v8, 0x400, v28
	v_add_u32_e32 v29, 0x800, v28
	ds_read2_b64 v[8:11], v8 offset0:96 offset1:128
	ds_read2_b64 v[12:15], v29 offset0:64 offset1:80
	s_waitcnt vmcnt(5) lgkmcnt(2)
	v_fma_f64 v[4:5], v[16:17], v[4:5], 0
	s_waitcnt vmcnt(4) lgkmcnt(1)
	v_fma_f64 v[16:17], v[18:19], v[10:11], 0
	s_waitcnt lgkmcnt(0)
	v_fma_f64 v[18:19], v[18:19], v[12:13], 0
	ds_read2_b64 v[10:13], v29 offset0:16 offset1:32
	s_waitcnt vmcnt(3)
	v_fma_f64 v[4:5], v[20:21], v[6:7], v[4:5]
	s_waitcnt vmcnt(2) lgkmcnt(0)
	v_fma_f64 v[6:7], v[22:23], v[10:11], v[16:17]
	v_fma_f64 v[10:11], v[22:23], v[14:15], v[18:19]
	ds_read_b64 v[14:15], v28 offset:2816
	s_waitcnt vmcnt(1)
	v_fma_f64 v[4:5], v[24:25], v[8:9], v[4:5]
	s_waitcnt vmcnt(0)
	v_fma_f64 v[6:7], v[26:27], v[12:13], v[6:7]
	s_waitcnt lgkmcnt(0)
	v_fma_f64 v[8:9], v[26:27], v[14:15], v[10:11]
	v_lshl_add_u32 v10, v2, 7, v28
	ds_write2st64_b64 v10, v[4:5], v[6:7] offset1:1
	ds_write_b64 v10, v[8:9] offset:1024
.LBB0_13:
	s_or_b64 exec, exec, s[16:17]
	v_or_b32_e32 v5, v1, v3
	v_max_u32_e32 v5, v2, v5
	v_mov_b32_e32 v4, 0
	v_cmp_gt_u32_e64 s[4:5], 4, v5
	s_waitcnt lgkmcnt(0)
	; wave barrier
	s_and_saveexec_b64 s[8:9], s[4:5]
	s_cbranch_execz .LBB0_15
; %bb.14:
	v_lshlrev_b32_e32 v7, 7, v2
	v_mov_b32_e32 v5, s15
	v_add_co_u32_e64 v6, s[4:5], s14, v7
	v_addc_co_u32_e64 v5, s[4:5], 0, v5, s[4:5]
	v_lshlrev_b32_e32 v8, 5, v1
	v_add_co_u32_e64 v9, s[4:5], v6, v8
	v_addc_co_u32_e64 v10, s[4:5], 0, v5, s[4:5]
	v_lshlrev_b64 v[5:6], 3, v[3:4]
	v_add_co_u32_e64 v5, s[4:5], v9, v5
	v_addc_co_u32_e64 v6, s[4:5], v10, v6, s[4:5]
	v_mov_b32_e32 v9, 0x600
	v_mad_u64_u32 v[5:6], s[4:5], s6, v9, v[5:6]
	global_load_dwordx2 v[9:10], v[5:6], off offset:512
	global_load_dwordx2 v[11:12], v[5:6], off
	global_load_dwordx2 v[13:14], v[5:6], off offset:1024
	v_lshlrev_b32_e32 v5, 3, v3
	v_add3_u32 v15, v7, v8, v5
	ds_read2st64_b64 v[5:8], v15 offset1:1
	s_waitcnt vmcnt(2) lgkmcnt(0)
	v_mul_f64 v[7:8], v[9:10], v[7:8]
	ds_read_b64 v[9:10], v15 offset:1024
	s_waitcnt vmcnt(1) lgkmcnt(0)
	v_fma_f64 v[7:8], v[11:12], v[9:10], v[7:8]
	s_waitcnt vmcnt(0)
	v_fma_f64 v[5:6], v[13:14], v[5:6], v[7:8]
	ds_write_b64 v15, v[5:6] offset:1536
.LBB0_15:
	s_or_b64 exec, exec, s[8:9]
	s_waitcnt lgkmcnt(0)
	; wave barrier
	s_and_saveexec_b64 s[8:9], s[2:3]
	s_cbranch_execz .LBB0_18
; %bb.16:
	v_cmp_gt_u32_e64 s[4:5], 4, v1
	s_xor_b64 s[0:1], s[0:1], -1
	s_and_b64 s[0:1], s[4:5], s[0:1]
	s_and_b64 exec, exec, s[0:1]
	s_cbranch_execz .LBB0_18
; %bb.17:
	v_lshlrev_b32_e32 v5, 3, v2
	global_load_dwordx2 v[9:10], v5, s[10:11]
	global_load_dwordx2 v[11:12], v5, s[10:11] offset:24
	global_load_dwordx2 v[13:14], v5, s[10:11] offset:48
	;; [unrolled: 1-line block ×3, first 2 shown]
	v_lshlrev_b32_e32 v5, 5, v1
	v_lshl_add_u32 v17, v3, 3, v5
	ds_read2_b64 v[5:8], v17 offset0:192 offset1:208
	s_waitcnt vmcnt(3) lgkmcnt(0)
	v_fma_f64 v[5:6], v[9:10], v[5:6], 0
	s_waitcnt vmcnt(2)
	v_fma_f64 v[9:10], v[11:12], v[7:8], v[5:6]
	ds_read2_b64 v[5:8], v17 offset0:224 offset1:240
	s_waitcnt vmcnt(1) lgkmcnt(0)
	v_fma_f64 v[5:6], v[13:14], v[5:6], v[9:10]
	s_waitcnt vmcnt(0)
	v_fma_f64 v[5:6], v[15:16], v[7:8], v[5:6]
	v_lshl_add_u32 v7, v2, 7, v17
	ds_write_b64 v7, v[5:6] offset:2048
.LBB0_18:
	s_or_b64 exec, exec, s[8:9]
	s_waitcnt lgkmcnt(0)
	; wave barrier
	s_and_saveexec_b64 s[4:5], vcc
	s_cbranch_execz .LBB0_21
; %bb.19:
	v_cmp_gt_u32_e64 s[0:1], 3, v1
	s_and_b64 s[0:1], s[2:3], s[0:1]
	s_and_b64 exec, exec, s[0:1]
	s_cbranch_execz .LBB0_21
; %bb.20:
	v_mov_b32_e32 v5, v2
	v_mov_b32_e32 v2, 0
	v_lshlrev_b64 v[6:7], 3, v[1:2]
	v_mov_b32_e32 v2, v5
	v_mov_b32_e32 v8, s11
	v_add_co_u32_e64 v5, s[0:1], s10, v6
	v_addc_co_u32_e64 v6, s[0:1], v8, v7, s[0:1]
	global_load_dwordx2 v[9:10], v[5:6], off
	global_load_dwordx2 v[11:12], v[5:6], off offset:24
	global_load_dwordx2 v[13:14], v[5:6], off offset:48
	;; [unrolled: 1-line block ×3, first 2 shown]
	v_lshlrev_b32_e32 v17, 3, v3
	v_lshl_add_u32 v5, v2, 7, v17
	v_add_u32_e32 v18, 0x800, v5
	ds_read2_b64 v[5:8], v18 offset1:4
	s_waitcnt vmcnt(3) lgkmcnt(0)
	v_fma_f64 v[5:6], v[9:10], v[5:6], 0
	s_waitcnt vmcnt(2)
	v_fma_f64 v[9:10], v[11:12], v[7:8], v[5:6]
	ds_read2_b64 v[5:8], v18 offset0:8 offset1:12
	s_waitcnt vmcnt(1) lgkmcnt(0)
	v_fma_f64 v[5:6], v[13:14], v[5:6], v[9:10]
	s_waitcnt vmcnt(0)
	v_fma_f64 v[5:6], v[15:16], v[7:8], v[5:6]
	v_mul_u32_u24_e32 v7, 0x60, v2
	v_lshlrev_b32_e32 v8, 5, v1
	v_add3_u32 v7, v7, v17, v8
	ds_write_b64 v7, v[5:6] offset:2560
.LBB0_21:
	s_or_b64 exec, exec, s[4:5]
	s_waitcnt lgkmcnt(0)
	; wave barrier
	s_and_saveexec_b64 s[0:1], vcc
	s_cbranch_execz .LBB0_24
; %bb.22:
	v_cmp_gt_u32_e32 vcc, 3, v0
	s_and_b64 exec, exec, vcc
	s_cbranch_execz .LBB0_24
; %bb.23:
	v_lshlrev_b64 v[3:4], 3, v[3:4]
	v_mov_b32_e32 v0, s11
	v_add_co_u32_e32 v5, vcc, s10, v3
	v_addc_co_u32_e32 v6, vcc, v0, v4, vcc
	global_load_dwordx2 v[8:9], v[5:6], off
	global_load_dwordx2 v[10:11], v[5:6], off offset:24
	global_load_dwordx2 v[12:13], v[5:6], off offset:48
	;; [unrolled: 1-line block ×3, first 2 shown]
	s_mul_i32 s0, s6, 0xd8
	s_mul_hi_u32 s1, s6, 0xd8
	s_add_u32 s0, s18, s0
	s_addc_u32 s1, s19, s1
	v_mov_b32_e32 v15, s1
	s_movk_i32 s2, 0x48
	v_mov_b32_e32 v14, s0
	v_mad_u64_u32 v[14:15], s[0:1], v2, s2, v[14:15]
	v_mul_u32_u24_e32 v0, 24, v1
	s_movk_i32 s0, 0x60
	v_add_co_u32_e32 v0, vcc, v14, v0
	v_addc_co_u32_e32 v5, vcc, 0, v15, vcc
	v_add_co_u32_e32 v14, vcc, v0, v3
	v_addc_co_u32_e32 v15, vcc, v5, v4, vcc
	global_load_dwordx2 v[18:19], v[14:15], off
	v_lshlrev_b32_e32 v0, 5, v1
	v_mad_u32_u24 v4, v2, s0, v0
	ds_read_b128 v[0:3], v4 offset:2560
	ds_read_b128 v[4:7], v4 offset:2576
	s_waitcnt vmcnt(4) lgkmcnt(1)
	v_fma_f64 v[0:1], v[8:9], v[0:1], 0
	s_waitcnt vmcnt(3)
	v_fma_f64 v[0:1], v[10:11], v[2:3], v[0:1]
	s_waitcnt vmcnt(2) lgkmcnt(0)
	v_fma_f64 v[0:1], v[12:13], v[4:5], v[0:1]
	s_waitcnt vmcnt(1)
	v_fma_f64 v[0:1], v[16:17], v[6:7], v[0:1]
	s_waitcnt vmcnt(0)
	v_add_f64 v[0:1], v[0:1], v[18:19]
	global_store_dwordx2 v[14:15], v[0:1], off
.LBB0_24:
	s_endpgm
	.section	.rodata,"a",@progbits
	.p2align	6, 0x0
	.amdhsa_kernel _ZN8rajaperf4apps14Convection3DPAILm64EEEvPdS2_S2_S2_S2_S2_
		.amdhsa_group_segment_fixed_size 3072
		.amdhsa_private_segment_fixed_size 0
		.amdhsa_kernarg_size 48
		.amdhsa_user_sgpr_count 6
		.amdhsa_user_sgpr_private_segment_buffer 1
		.amdhsa_user_sgpr_dispatch_ptr 0
		.amdhsa_user_sgpr_queue_ptr 0
		.amdhsa_user_sgpr_kernarg_segment_ptr 1
		.amdhsa_user_sgpr_dispatch_id 0
		.amdhsa_user_sgpr_flat_scratch_init 0
		.amdhsa_user_sgpr_private_segment_size 0
		.amdhsa_uses_dynamic_stack 0
		.amdhsa_system_sgpr_private_segment_wavefront_offset 0
		.amdhsa_system_sgpr_workgroup_id_x 1
		.amdhsa_system_sgpr_workgroup_id_y 0
		.amdhsa_system_sgpr_workgroup_id_z 0
		.amdhsa_system_sgpr_workgroup_info 0
		.amdhsa_system_vgpr_workitem_id 2
		.amdhsa_next_free_vgpr 37
		.amdhsa_next_free_sgpr 93
		.amdhsa_reserve_vcc 1
		.amdhsa_reserve_flat_scratch 0
		.amdhsa_float_round_mode_32 0
		.amdhsa_float_round_mode_16_64 0
		.amdhsa_float_denorm_mode_32 3
		.amdhsa_float_denorm_mode_16_64 3
		.amdhsa_dx10_clamp 1
		.amdhsa_ieee_mode 1
		.amdhsa_fp16_overflow 0
		.amdhsa_exception_fp_ieee_invalid_op 0
		.amdhsa_exception_fp_denorm_src 0
		.amdhsa_exception_fp_ieee_div_zero 0
		.amdhsa_exception_fp_ieee_overflow 0
		.amdhsa_exception_fp_ieee_underflow 0
		.amdhsa_exception_fp_ieee_inexact 0
		.amdhsa_exception_int_div_zero 0
	.end_amdhsa_kernel
	.section	.text._ZN8rajaperf4apps14Convection3DPAILm64EEEvPdS2_S2_S2_S2_S2_,"axG",@progbits,_ZN8rajaperf4apps14Convection3DPAILm64EEEvPdS2_S2_S2_S2_S2_,comdat
.Lfunc_end0:
	.size	_ZN8rajaperf4apps14Convection3DPAILm64EEEvPdS2_S2_S2_S2_S2_, .Lfunc_end0-_ZN8rajaperf4apps14Convection3DPAILm64EEEvPdS2_S2_S2_S2_S2_
                                        ; -- End function
	.set _ZN8rajaperf4apps14Convection3DPAILm64EEEvPdS2_S2_S2_S2_S2_.num_vgpr, 30
	.set _ZN8rajaperf4apps14Convection3DPAILm64EEEvPdS2_S2_S2_S2_S2_.num_agpr, 0
	.set _ZN8rajaperf4apps14Convection3DPAILm64EEEvPdS2_S2_S2_S2_S2_.numbered_sgpr, 20
	.set _ZN8rajaperf4apps14Convection3DPAILm64EEEvPdS2_S2_S2_S2_S2_.num_named_barrier, 0
	.set _ZN8rajaperf4apps14Convection3DPAILm64EEEvPdS2_S2_S2_S2_S2_.private_seg_size, 0
	.set _ZN8rajaperf4apps14Convection3DPAILm64EEEvPdS2_S2_S2_S2_S2_.uses_vcc, 1
	.set _ZN8rajaperf4apps14Convection3DPAILm64EEEvPdS2_S2_S2_S2_S2_.uses_flat_scratch, 0
	.set _ZN8rajaperf4apps14Convection3DPAILm64EEEvPdS2_S2_S2_S2_S2_.has_dyn_sized_stack, 0
	.set _ZN8rajaperf4apps14Convection3DPAILm64EEEvPdS2_S2_S2_S2_S2_.has_recursion, 0
	.set _ZN8rajaperf4apps14Convection3DPAILm64EEEvPdS2_S2_S2_S2_S2_.has_indirect_call, 0
	.section	.AMDGPU.csdata,"",@progbits
; Kernel info:
; codeLenInByte = 1904
; TotalNumSgprs: 24
; NumVgprs: 30
; ScratchSize: 0
; MemoryBound: 0
; FloatMode: 240
; IeeeMode: 1
; LDSByteSize: 3072 bytes/workgroup (compile time only)
; SGPRBlocks: 12
; VGPRBlocks: 9
; NumSGPRsForWavesPerEU: 97
; NumVGPRsForWavesPerEU: 37
; Occupancy: 6
; WaveLimiterHint : 1
; COMPUTE_PGM_RSRC2:SCRATCH_EN: 0
; COMPUTE_PGM_RSRC2:USER_SGPR: 6
; COMPUTE_PGM_RSRC2:TRAP_HANDLER: 0
; COMPUTE_PGM_RSRC2:TGID_X_EN: 1
; COMPUTE_PGM_RSRC2:TGID_Y_EN: 0
; COMPUTE_PGM_RSRC2:TGID_Z_EN: 0
; COMPUTE_PGM_RSRC2:TIDIG_COMP_CNT: 2
	.section	.text._ZN4RAJA34launch_new_reduce_global_fcn_fixedIZN8rajaperf4apps14CONVECTION3DPA17runHipVariantImplILm64EEEvNS1_9VariantIDEEUlNS_14LaunchContextTINS_3hip33LaunchContextIndicesAndDimsPolicyINS7_14IndicesAndDimsILb0ELb0ELb0ELb0EEEEEEEE_Li64ENS_4expt15ForallParamPackIJEEEEEvT_T1_,"axG",@progbits,_ZN4RAJA34launch_new_reduce_global_fcn_fixedIZN8rajaperf4apps14CONVECTION3DPA17runHipVariantImplILm64EEEvNS1_9VariantIDEEUlNS_14LaunchContextTINS_3hip33LaunchContextIndicesAndDimsPolicyINS7_14IndicesAndDimsILb0ELb0ELb0ELb0EEEEEEEE_Li64ENS_4expt15ForallParamPackIJEEEEEvT_T1_,comdat
	.protected	_ZN4RAJA34launch_new_reduce_global_fcn_fixedIZN8rajaperf4apps14CONVECTION3DPA17runHipVariantImplILm64EEEvNS1_9VariantIDEEUlNS_14LaunchContextTINS_3hip33LaunchContextIndicesAndDimsPolicyINS7_14IndicesAndDimsILb0ELb0ELb0ELb0EEEEEEEE_Li64ENS_4expt15ForallParamPackIJEEEEEvT_T1_ ; -- Begin function _ZN4RAJA34launch_new_reduce_global_fcn_fixedIZN8rajaperf4apps14CONVECTION3DPA17runHipVariantImplILm64EEEvNS1_9VariantIDEEUlNS_14LaunchContextTINS_3hip33LaunchContextIndicesAndDimsPolicyINS7_14IndicesAndDimsILb0ELb0ELb0ELb0EEEEEEEE_Li64ENS_4expt15ForallParamPackIJEEEEEvT_T1_
	.globl	_ZN4RAJA34launch_new_reduce_global_fcn_fixedIZN8rajaperf4apps14CONVECTION3DPA17runHipVariantImplILm64EEEvNS1_9VariantIDEEUlNS_14LaunchContextTINS_3hip33LaunchContextIndicesAndDimsPolicyINS7_14IndicesAndDimsILb0ELb0ELb0ELb0EEEEEEEE_Li64ENS_4expt15ForallParamPackIJEEEEEvT_T1_
	.p2align	8
	.type	_ZN4RAJA34launch_new_reduce_global_fcn_fixedIZN8rajaperf4apps14CONVECTION3DPA17runHipVariantImplILm64EEEvNS1_9VariantIDEEUlNS_14LaunchContextTINS_3hip33LaunchContextIndicesAndDimsPolicyINS7_14IndicesAndDimsILb0ELb0ELb0ELb0EEEEEEEE_Li64ENS_4expt15ForallParamPackIJEEEEEvT_T1_,@function
_ZN4RAJA34launch_new_reduce_global_fcn_fixedIZN8rajaperf4apps14CONVECTION3DPA17runHipVariantImplILm64EEEvNS1_9VariantIDEEUlNS_14LaunchContextTINS_3hip33LaunchContextIndicesAndDimsPolicyINS7_14IndicesAndDimsILb0ELb0ELb0ELb0EEEEEEEE_Li64ENS_4expt15ForallParamPackIJEEEEEvT_T1_: ; @_ZN4RAJA34launch_new_reduce_global_fcn_fixedIZN8rajaperf4apps14CONVECTION3DPA17runHipVariantImplILm64EEEvNS1_9VariantIDEEUlNS_14LaunchContextTINS_3hip33LaunchContextIndicesAndDimsPolicyINS7_14IndicesAndDimsILb0ELb0ELb0ELb0EEEEEEEE_Li64ENS_4expt15ForallParamPackIJEEEEEvT_T1_
; %bb.0:
	s_load_dwordx8 s[8:15], s[4:5], 0x0
	s_mov_b32 s7, 0
	v_mov_b32_e32 v4, s6
	v_mov_b32_e32 v5, s7
	s_waitcnt lgkmcnt(0)
	v_cmp_le_i64_e32 vcc, s[8:9], v[4:5]
	s_cbranch_vccnz .LBB1_36
; %bb.1:
	s_load_dwordx4 s[16:19], s[4:5], 0x20
	s_load_dwordx2 s[8:9], s[4:5], 0x30
	v_mov_b32_e32 v3, v1
	v_cmp_lt_u32_e64 s[0:1], 2, v2
	v_cmp_gt_u32_e32 vcc, 3, v2
	s_and_saveexec_b64 s[4:5], vcc
	s_cbranch_execz .LBB1_5
; %bb.2:
	v_cmp_gt_u32_e64 s[2:3], 3, v3
	s_and_b64 exec, exec, s[2:3]
	s_cbranch_execz .LBB1_5
; %bb.3:
	v_cmp_gt_u32_e64 s[2:3], 3, v0
	s_and_b64 exec, exec, s[2:3]
	s_cbranch_execz .LBB1_5
; %bb.4:
	v_mul_u32_u24_e32 v1, 24, v3
	v_mov_b32_e32 v5, s11
	v_add_co_u32_e64 v4, s[2:3], s10, v1
	v_addc_co_u32_e64 v5, s[2:3], 0, v5, s[2:3]
	s_movk_i32 s2, 0x48
	v_mad_u64_u32 v[4:5], s[2:3], v2, s2, v[4:5]
	v_mov_b32_e32 v6, 0xd8
	v_mul_u32_u24_e32 v7, 0x48, v2
	v_mad_u64_u32 v[4:5], s[2:3], s6, v6, v[4:5]
	v_lshlrev_b32_e32 v6, 3, v0
	v_add3_u32 v1, v7, v1, v6
	v_add_co_u32_e64 v4, s[2:3], v4, v6
	v_addc_co_u32_e64 v5, s[2:3], 0, v5, s[2:3]
	global_load_dwordx2 v[4:5], v[4:5], off
	s_waitcnt vmcnt(0)
	ds_write_b64 v1, v[4:5]
.LBB1_5:
	s_or_b64 exec, exec, s[4:5]
	s_waitcnt lgkmcnt(0)
	; wave barrier
	s_and_saveexec_b64 s[2:3], s[0:1]
	s_xor_b64 s[0:1], exec, s[2:3]
; %bb.6:
	v_mov_b32_e32 v1, 0
; %bb.7:
	s_andn2_saveexec_b64 s[2:3], s[0:1]
	s_cbranch_execz .LBB1_12
; %bb.8:
	v_cmp_gt_u32_e64 s[0:1], 3, v3
	v_mov_b32_e32 v1, 0
	s_and_saveexec_b64 s[4:5], s[0:1]
	s_cbranch_execz .LBB1_11
; %bb.9:
	v_cmp_gt_u32_e64 s[0:1], 4, v0
	s_and_b64 exec, exec, s[0:1]
	s_cbranch_execz .LBB1_11
; %bb.10:
	v_lshlrev_b32_e32 v22, 3, v0
	global_load_dwordx2 v[8:9], v22, s[12:13]
	global_load_dwordx2 v[10:11], v22, s[14:15]
	global_load_dwordx2 v[12:13], v22, s[12:13] offset:32
	global_load_dwordx2 v[14:15], v22, s[14:15] offset:32
	;; [unrolled: 1-line block ×4, first 2 shown]
	v_mul_u32_u24_e32 v4, 24, v3
	s_movk_i32 s0, 0x48
	v_mad_u32_u24 v20, v2, s0, v4
	ds_read2_b64 v[4:7], v20 offset1:1
	ds_read_b64 v[20:21], v20 offset:16
	s_waitcnt vmcnt(5) lgkmcnt(1)
	v_fma_f64 v[8:9], v[8:9], v[4:5], 0
	s_waitcnt vmcnt(4)
	v_fma_f64 v[4:5], v[10:11], v[4:5], 0
	s_waitcnt vmcnt(3)
	;; [unrolled: 2-line block ×3, first 2 shown]
	v_fma_f64 v[4:5], v[14:15], v[6:7], v[4:5]
	s_waitcnt vmcnt(1) lgkmcnt(0)
	v_fma_f64 v[6:7], v[16:17], v[20:21], v[8:9]
	s_waitcnt vmcnt(0)
	v_fma_f64 v[4:5], v[18:19], v[20:21], v[4:5]
	v_mul_u32_u24_e32 v8, 0x60, v2
	v_lshlrev_b32_e32 v9, 5, v3
	v_add3_u32 v8, v8, v9, v22
	ds_write2st64_b64 v8, v[6:7], v[4:5] offset0:1 offset1:2
.LBB1_11:
	s_or_b64 exec, exec, s[4:5]
.LBB1_12:
	s_or_b64 exec, exec, s[2:3]
	s_waitcnt lgkmcnt(0)
	; wave barrier
	s_and_saveexec_b64 s[2:3], vcc
	s_cbranch_execz .LBB1_16
; %bb.13:
	v_cmp_gt_u32_e64 s[0:1], 4, v0
	s_and_b64 exec, exec, s[0:1]
	s_cbranch_execz .LBB1_16
; %bb.14:
	v_cmp_gt_u32_e64 s[0:1], 4, v3
	s_and_b64 exec, exec, s[0:1]
	s_cbranch_execz .LBB1_16
; %bb.15:
	v_lshlrev_b32_e32 v4, 3, v3
	global_load_dwordx2 v[12:13], v4, s[12:13]
	global_load_dwordx2 v[14:15], v4, s[14:15]
	global_load_dwordx2 v[16:17], v4, s[12:13] offset:32
	global_load_dwordx2 v[18:19], v4, s[14:15] offset:32
	;; [unrolled: 1-line block ×4, first 2 shown]
	v_lshlrev_b32_e32 v26, 3, v0
	s_movk_i32 s0, 0x60
	v_mad_u32_u24 v27, v2, s0, v26
	ds_read2_b64 v[4:7], v27 offset0:64 offset1:68
	ds_read2_b64 v[8:11], v27 offset0:72 offset1:128
	s_waitcnt vmcnt(5) lgkmcnt(1)
	v_fma_f64 v[24:25], v[12:13], v[4:5], 0
	s_waitcnt vmcnt(4)
	v_fma_f64 v[4:5], v[14:15], v[4:5], 0
	s_waitcnt lgkmcnt(0)
	v_fma_f64 v[14:15], v[12:13], v[10:11], 0
	ds_read2_b64 v[10:13], v27 offset0:132 offset1:136
	s_waitcnt vmcnt(3)
	v_fma_f64 v[24:25], v[16:17], v[6:7], v[24:25]
	s_waitcnt vmcnt(2)
	v_fma_f64 v[4:5], v[18:19], v[6:7], v[4:5]
	s_waitcnt lgkmcnt(0)
	v_fma_f64 v[6:7], v[16:17], v[10:11], v[14:15]
	s_waitcnt vmcnt(1)
	v_fma_f64 v[10:11], v[20:21], v[8:9], v[24:25]
	s_waitcnt vmcnt(0)
	v_fma_f64 v[4:5], v[22:23], v[8:9], v[4:5]
	v_fma_f64 v[6:7], v[20:21], v[12:13], v[6:7]
	v_lshlrev_b32_e32 v8, 7, v2
	v_lshlrev_b32_e32 v9, 5, v3
	v_add3_u32 v8, v8, v26, v9
	ds_write2st64_b64 v8, v[10:11], v[4:5] offset0:3 offset1:4
	ds_write_b64 v8, v[6:7] offset:2560
.LBB1_16:
	s_or_b64 exec, exec, s[2:3]
	v_cmp_gt_u32_e64 s[0:1], 4, v0
	s_waitcnt lgkmcnt(0)
	; wave barrier
	s_and_saveexec_b64 s[4:5], s[0:1]
	s_cbranch_execz .LBB1_20
; %bb.17:
	v_cmp_gt_u32_e64 s[2:3], 4, v3
	s_and_b64 exec, exec, s[2:3]
	s_cbranch_execz .LBB1_20
; %bb.18:
	v_cmp_gt_u32_e64 s[2:3], 4, v2
	s_and_b64 exec, exec, s[2:3]
	s_cbranch_execz .LBB1_20
; %bb.19:
	v_lshlrev_b32_e32 v4, 3, v2
	global_load_dwordx2 v[16:17], v4, s[14:15]
	global_load_dwordx2 v[18:19], v4, s[12:13]
	global_load_dwordx2 v[20:21], v4, s[14:15] offset:32
	global_load_dwordx2 v[22:23], v4, s[12:13] offset:32
	;; [unrolled: 1-line block ×4, first 2 shown]
	v_lshlrev_b32_e32 v4, 3, v0
	v_lshl_add_u32 v28, v3, 5, v4
	ds_read2_b64 v[4:7], v28 offset0:192 offset1:208
	v_add_u32_e32 v8, 0x400, v28
	v_add_u32_e32 v29, 0x800, v28
	ds_read2_b64 v[8:11], v8 offset0:96 offset1:128
	ds_read2_b64 v[12:15], v29 offset0:64 offset1:80
	s_waitcnt vmcnt(5) lgkmcnt(2)
	v_fma_f64 v[4:5], v[16:17], v[4:5], 0
	s_waitcnt vmcnt(4) lgkmcnt(1)
	v_fma_f64 v[16:17], v[18:19], v[10:11], 0
	s_waitcnt lgkmcnt(0)
	v_fma_f64 v[18:19], v[18:19], v[12:13], 0
	ds_read2_b64 v[10:13], v29 offset0:16 offset1:32
	s_waitcnt vmcnt(3)
	v_fma_f64 v[4:5], v[20:21], v[6:7], v[4:5]
	s_waitcnt vmcnt(2) lgkmcnt(0)
	v_fma_f64 v[6:7], v[22:23], v[10:11], v[16:17]
	v_fma_f64 v[10:11], v[22:23], v[14:15], v[18:19]
	ds_read_b64 v[14:15], v28 offset:2816
	s_waitcnt vmcnt(1)
	v_fma_f64 v[4:5], v[24:25], v[8:9], v[4:5]
	s_waitcnt vmcnt(0)
	v_fma_f64 v[6:7], v[26:27], v[12:13], v[6:7]
	s_waitcnt lgkmcnt(0)
	v_fma_f64 v[8:9], v[26:27], v[14:15], v[10:11]
	v_lshl_add_u32 v10, v2, 7, v28
	ds_write2st64_b64 v10, v[4:5], v[6:7] offset1:1
	ds_write_b64 v10, v[8:9] offset:1024
.LBB1_20:
	s_or_b64 exec, exec, s[4:5]
	v_cmp_gt_u32_e64 s[2:3], 4, v2
	s_waitcnt lgkmcnt(0)
	; wave barrier
	s_and_saveexec_b64 s[4:5], s[2:3]
	s_cbranch_execz .LBB1_24
; %bb.21:
	v_cmp_gt_u32_e64 s[2:3], 4, v3
	s_and_b64 exec, exec, s[2:3]
	s_cbranch_execz .LBB1_24
; %bb.22:
	s_and_b64 exec, exec, s[0:1]
	s_cbranch_execz .LBB1_24
; %bb.23:
	v_lshlrev_b32_e32 v6, 5, v3
	v_mov_b32_e32 v4, s17
	v_add_co_u32_e64 v5, s[2:3], s16, v6
	v_addc_co_u32_e64 v4, s[2:3], 0, v4, s[2:3]
	v_lshlrev_b32_e32 v7, 7, v2
	v_add_co_u32_e64 v8, s[2:3], v5, v7
	v_addc_co_u32_e64 v9, s[2:3], 0, v4, s[2:3]
	v_lshlrev_b64 v[4:5], 3, v[0:1]
	v_add_co_u32_e64 v4, s[2:3], v8, v4
	v_addc_co_u32_e64 v5, s[2:3], v9, v5, s[2:3]
	v_mov_b32_e32 v8, 0x600
	v_mad_u64_u32 v[4:5], s[2:3], s6, v8, v[4:5]
	global_load_dwordx2 v[8:9], v[4:5], off offset:512
	global_load_dwordx2 v[10:11], v[4:5], off
	global_load_dwordx2 v[12:13], v[4:5], off offset:1024
	v_lshlrev_b32_e32 v4, 3, v0
	v_add3_u32 v14, v7, v6, v4
	ds_read2st64_b64 v[4:7], v14 offset1:1
	s_waitcnt vmcnt(2) lgkmcnt(0)
	v_mul_f64 v[6:7], v[8:9], v[6:7]
	ds_read_b64 v[8:9], v14 offset:1024
	s_waitcnt vmcnt(1) lgkmcnt(0)
	v_fma_f64 v[6:7], v[10:11], v[8:9], v[6:7]
	s_waitcnt vmcnt(0)
	v_fma_f64 v[4:5], v[12:13], v[4:5], v[6:7]
	ds_write_b64 v14, v[4:5] offset:1536
.LBB1_24:
	s_or_b64 exec, exec, s[4:5]
	s_waitcnt lgkmcnt(0)
	; wave barrier
	s_and_saveexec_b64 s[4:5], s[0:1]
	s_cbranch_execz .LBB1_28
; %bb.25:
	v_cmp_gt_u32_e64 s[2:3], 4, v3
	s_and_b64 exec, exec, s[2:3]
	s_cbranch_execz .LBB1_28
; %bb.26:
	s_and_b64 exec, exec, vcc
	s_cbranch_execz .LBB1_28
; %bb.27:
	v_lshlrev_b32_e32 v4, 3, v2
	global_load_dwordx2 v[8:9], v4, s[18:19]
	global_load_dwordx2 v[10:11], v4, s[18:19] offset:24
	global_load_dwordx2 v[12:13], v4, s[18:19] offset:48
	;; [unrolled: 1-line block ×3, first 2 shown]
	v_lshlrev_b32_e32 v4, 3, v0
	v_lshl_add_u32 v16, v3, 5, v4
	ds_read2_b64 v[4:7], v16 offset0:192 offset1:208
	s_waitcnt vmcnt(3) lgkmcnt(0)
	v_fma_f64 v[4:5], v[8:9], v[4:5], 0
	s_waitcnt vmcnt(2)
	v_fma_f64 v[8:9], v[10:11], v[6:7], v[4:5]
	ds_read2_b64 v[4:7], v16 offset0:224 offset1:240
	s_waitcnt vmcnt(1) lgkmcnt(0)
	v_fma_f64 v[4:5], v[12:13], v[4:5], v[8:9]
	s_waitcnt vmcnt(0)
	v_fma_f64 v[4:5], v[14:15], v[6:7], v[4:5]
	v_lshl_add_u32 v6, v2, 7, v16
	ds_write_b64 v6, v[4:5] offset:2048
.LBB1_28:
	s_or_b64 exec, exec, s[4:5]
	s_waitcnt lgkmcnt(0)
	; wave barrier
	s_and_saveexec_b64 s[2:3], vcc
	s_cbranch_execz .LBB1_32
; %bb.29:
	s_and_b64 exec, exec, s[0:1]
	s_cbranch_execz .LBB1_32
; %bb.30:
	v_cmp_gt_u32_e64 s[0:1], 3, v3
	s_and_b64 exec, exec, s[0:1]
	s_cbranch_execz .LBB1_32
; %bb.31:
	v_lshlrev_b32_e32 v4, 3, v3
	global_load_dwordx2 v[8:9], v4, s[18:19]
	global_load_dwordx2 v[10:11], v4, s[18:19] offset:24
	global_load_dwordx2 v[12:13], v4, s[18:19] offset:48
	;; [unrolled: 1-line block ×3, first 2 shown]
	v_lshlrev_b32_e32 v16, 3, v0
	v_lshl_add_u32 v4, v2, 7, v16
	v_add_u32_e32 v17, 0x800, v4
	ds_read2_b64 v[4:7], v17 offset1:4
	s_waitcnt vmcnt(3) lgkmcnt(0)
	v_fma_f64 v[4:5], v[8:9], v[4:5], 0
	s_waitcnt vmcnt(2)
	v_fma_f64 v[8:9], v[10:11], v[6:7], v[4:5]
	ds_read2_b64 v[4:7], v17 offset0:8 offset1:12
	s_waitcnt vmcnt(1) lgkmcnt(0)
	v_fma_f64 v[4:5], v[12:13], v[4:5], v[8:9]
	s_waitcnt vmcnt(0)
	v_fma_f64 v[4:5], v[14:15], v[6:7], v[4:5]
	v_mul_u32_u24_e32 v6, 0x60, v2
	v_lshlrev_b32_e32 v7, 5, v3
	v_add3_u32 v6, v6, v16, v7
	ds_write_b64 v6, v[4:5] offset:2560
.LBB1_32:
	s_or_b64 exec, exec, s[2:3]
	s_waitcnt lgkmcnt(0)
	; wave barrier
	s_and_saveexec_b64 s[0:1], vcc
	s_cbranch_execz .LBB1_36
; %bb.33:
	v_cmp_gt_u32_e32 vcc, 3, v3
	s_and_b64 exec, exec, vcc
	s_cbranch_execz .LBB1_36
; %bb.34:
	v_cmp_gt_u32_e32 vcc, 3, v0
	s_and_b64 exec, exec, vcc
	s_cbranch_execz .LBB1_36
; %bb.35:
	v_lshlrev_b64 v[0:1], 3, v[0:1]
	v_mov_b32_e32 v5, s19
	v_add_co_u32_e32 v4, vcc, s18, v0
	v_addc_co_u32_e32 v5, vcc, v5, v1, vcc
	global_load_dwordx2 v[8:9], v[4:5], off
	global_load_dwordx2 v[10:11], v[4:5], off offset:24
	global_load_dwordx2 v[12:13], v[4:5], off offset:48
	;; [unrolled: 1-line block ×3, first 2 shown]
	v_mul_u32_u24_e32 v6, 24, v3
	v_mov_b32_e32 v7, s9
	v_add_co_u32_e32 v6, vcc, s8, v6
	v_addc_co_u32_e32 v7, vcc, 0, v7, vcc
	s_movk_i32 s0, 0x48
	v_mad_u64_u32 v[6:7], s[0:1], v2, s0, v[6:7]
	v_mov_b32_e32 v16, 0xd8
	v_mad_u64_u32 v[4:5], s[0:1], s6, v16, v[6:7]
	s_movk_i32 s0, 0x60
	v_add_co_u32_e32 v16, vcc, v4, v0
	v_addc_co_u32_e32 v17, vcc, v5, v1, vcc
	global_load_dwordx2 v[18:19], v[16:17], off
	v_lshlrev_b32_e32 v0, 5, v3
	v_mad_u32_u24 v4, v2, s0, v0
	ds_read_b128 v[0:3], v4 offset:2560
	ds_read_b128 v[4:7], v4 offset:2576
	s_waitcnt vmcnt(4) lgkmcnt(1)
	v_fma_f64 v[0:1], v[8:9], v[0:1], 0
	s_waitcnt vmcnt(3)
	v_fma_f64 v[0:1], v[10:11], v[2:3], v[0:1]
	s_waitcnt vmcnt(2) lgkmcnt(0)
	v_fma_f64 v[0:1], v[12:13], v[4:5], v[0:1]
	s_waitcnt vmcnt(1)
	v_fma_f64 v[0:1], v[14:15], v[6:7], v[0:1]
	s_waitcnt vmcnt(0)
	v_add_f64 v[0:1], v[18:19], v[0:1]
	global_store_dwordx2 v[16:17], v[0:1], off
.LBB1_36:
	s_endpgm
	.section	.rodata,"a",@progbits
	.p2align	6, 0x0
	.amdhsa_kernel _ZN4RAJA34launch_new_reduce_global_fcn_fixedIZN8rajaperf4apps14CONVECTION3DPA17runHipVariantImplILm64EEEvNS1_9VariantIDEEUlNS_14LaunchContextTINS_3hip33LaunchContextIndicesAndDimsPolicyINS7_14IndicesAndDimsILb0ELb0ELb0ELb0EEEEEEEE_Li64ENS_4expt15ForallParamPackIJEEEEEvT_T1_
		.amdhsa_group_segment_fixed_size 3072
		.amdhsa_private_segment_fixed_size 0
		.amdhsa_kernarg_size 60
		.amdhsa_user_sgpr_count 6
		.amdhsa_user_sgpr_private_segment_buffer 1
		.amdhsa_user_sgpr_dispatch_ptr 0
		.amdhsa_user_sgpr_queue_ptr 0
		.amdhsa_user_sgpr_kernarg_segment_ptr 1
		.amdhsa_user_sgpr_dispatch_id 0
		.amdhsa_user_sgpr_flat_scratch_init 0
		.amdhsa_user_sgpr_private_segment_size 0
		.amdhsa_uses_dynamic_stack 0
		.amdhsa_system_sgpr_private_segment_wavefront_offset 0
		.amdhsa_system_sgpr_workgroup_id_x 1
		.amdhsa_system_sgpr_workgroup_id_y 0
		.amdhsa_system_sgpr_workgroup_id_z 0
		.amdhsa_system_sgpr_workgroup_info 0
		.amdhsa_system_vgpr_workitem_id 2
		.amdhsa_next_free_vgpr 37
		.amdhsa_next_free_sgpr 93
		.amdhsa_reserve_vcc 1
		.amdhsa_reserve_flat_scratch 0
		.amdhsa_float_round_mode_32 0
		.amdhsa_float_round_mode_16_64 0
		.amdhsa_float_denorm_mode_32 3
		.amdhsa_float_denorm_mode_16_64 3
		.amdhsa_dx10_clamp 1
		.amdhsa_ieee_mode 1
		.amdhsa_fp16_overflow 0
		.amdhsa_exception_fp_ieee_invalid_op 0
		.amdhsa_exception_fp_denorm_src 0
		.amdhsa_exception_fp_ieee_div_zero 0
		.amdhsa_exception_fp_ieee_overflow 0
		.amdhsa_exception_fp_ieee_underflow 0
		.amdhsa_exception_fp_ieee_inexact 0
		.amdhsa_exception_int_div_zero 0
	.end_amdhsa_kernel
	.section	.text._ZN4RAJA34launch_new_reduce_global_fcn_fixedIZN8rajaperf4apps14CONVECTION3DPA17runHipVariantImplILm64EEEvNS1_9VariantIDEEUlNS_14LaunchContextTINS_3hip33LaunchContextIndicesAndDimsPolicyINS7_14IndicesAndDimsILb0ELb0ELb0ELb0EEEEEEEE_Li64ENS_4expt15ForallParamPackIJEEEEEvT_T1_,"axG",@progbits,_ZN4RAJA34launch_new_reduce_global_fcn_fixedIZN8rajaperf4apps14CONVECTION3DPA17runHipVariantImplILm64EEEvNS1_9VariantIDEEUlNS_14LaunchContextTINS_3hip33LaunchContextIndicesAndDimsPolicyINS7_14IndicesAndDimsILb0ELb0ELb0ELb0EEEEEEEE_Li64ENS_4expt15ForallParamPackIJEEEEEvT_T1_,comdat
.Lfunc_end1:
	.size	_ZN4RAJA34launch_new_reduce_global_fcn_fixedIZN8rajaperf4apps14CONVECTION3DPA17runHipVariantImplILm64EEEvNS1_9VariantIDEEUlNS_14LaunchContextTINS_3hip33LaunchContextIndicesAndDimsPolicyINS7_14IndicesAndDimsILb0ELb0ELb0ELb0EEEEEEEE_Li64ENS_4expt15ForallParamPackIJEEEEEvT_T1_, .Lfunc_end1-_ZN4RAJA34launch_new_reduce_global_fcn_fixedIZN8rajaperf4apps14CONVECTION3DPA17runHipVariantImplILm64EEEvNS1_9VariantIDEEUlNS_14LaunchContextTINS_3hip33LaunchContextIndicesAndDimsPolicyINS7_14IndicesAndDimsILb0ELb0ELb0ELb0EEEEEEEE_Li64ENS_4expt15ForallParamPackIJEEEEEvT_T1_
                                        ; -- End function
	.set _ZN4RAJA34launch_new_reduce_global_fcn_fixedIZN8rajaperf4apps14CONVECTION3DPA17runHipVariantImplILm64EEEvNS1_9VariantIDEEUlNS_14LaunchContextTINS_3hip33LaunchContextIndicesAndDimsPolicyINS7_14IndicesAndDimsILb0ELb0ELb0ELb0EEEEEEEE_Li64ENS_4expt15ForallParamPackIJEEEEEvT_T1_.num_vgpr, 30
	.set _ZN4RAJA34launch_new_reduce_global_fcn_fixedIZN8rajaperf4apps14CONVECTION3DPA17runHipVariantImplILm64EEEvNS1_9VariantIDEEUlNS_14LaunchContextTINS_3hip33LaunchContextIndicesAndDimsPolicyINS7_14IndicesAndDimsILb0ELb0ELb0ELb0EEEEEEEE_Li64ENS_4expt15ForallParamPackIJEEEEEvT_T1_.num_agpr, 0
	.set _ZN4RAJA34launch_new_reduce_global_fcn_fixedIZN8rajaperf4apps14CONVECTION3DPA17runHipVariantImplILm64EEEvNS1_9VariantIDEEUlNS_14LaunchContextTINS_3hip33LaunchContextIndicesAndDimsPolicyINS7_14IndicesAndDimsILb0ELb0ELb0ELb0EEEEEEEE_Li64ENS_4expt15ForallParamPackIJEEEEEvT_T1_.numbered_sgpr, 20
	.set _ZN4RAJA34launch_new_reduce_global_fcn_fixedIZN8rajaperf4apps14CONVECTION3DPA17runHipVariantImplILm64EEEvNS1_9VariantIDEEUlNS_14LaunchContextTINS_3hip33LaunchContextIndicesAndDimsPolicyINS7_14IndicesAndDimsILb0ELb0ELb0ELb0EEEEEEEE_Li64ENS_4expt15ForallParamPackIJEEEEEvT_T1_.num_named_barrier, 0
	.set _ZN4RAJA34launch_new_reduce_global_fcn_fixedIZN8rajaperf4apps14CONVECTION3DPA17runHipVariantImplILm64EEEvNS1_9VariantIDEEUlNS_14LaunchContextTINS_3hip33LaunchContextIndicesAndDimsPolicyINS7_14IndicesAndDimsILb0ELb0ELb0ELb0EEEEEEEE_Li64ENS_4expt15ForallParamPackIJEEEEEvT_T1_.private_seg_size, 0
	.set _ZN4RAJA34launch_new_reduce_global_fcn_fixedIZN8rajaperf4apps14CONVECTION3DPA17runHipVariantImplILm64EEEvNS1_9VariantIDEEUlNS_14LaunchContextTINS_3hip33LaunchContextIndicesAndDimsPolicyINS7_14IndicesAndDimsILb0ELb0ELb0ELb0EEEEEEEE_Li64ENS_4expt15ForallParamPackIJEEEEEvT_T1_.uses_vcc, 1
	.set _ZN4RAJA34launch_new_reduce_global_fcn_fixedIZN8rajaperf4apps14CONVECTION3DPA17runHipVariantImplILm64EEEvNS1_9VariantIDEEUlNS_14LaunchContextTINS_3hip33LaunchContextIndicesAndDimsPolicyINS7_14IndicesAndDimsILb0ELb0ELb0ELb0EEEEEEEE_Li64ENS_4expt15ForallParamPackIJEEEEEvT_T1_.uses_flat_scratch, 0
	.set _ZN4RAJA34launch_new_reduce_global_fcn_fixedIZN8rajaperf4apps14CONVECTION3DPA17runHipVariantImplILm64EEEvNS1_9VariantIDEEUlNS_14LaunchContextTINS_3hip33LaunchContextIndicesAndDimsPolicyINS7_14IndicesAndDimsILb0ELb0ELb0ELb0EEEEEEEE_Li64ENS_4expt15ForallParamPackIJEEEEEvT_T1_.has_dyn_sized_stack, 0
	.set _ZN4RAJA34launch_new_reduce_global_fcn_fixedIZN8rajaperf4apps14CONVECTION3DPA17runHipVariantImplILm64EEEvNS1_9VariantIDEEUlNS_14LaunchContextTINS_3hip33LaunchContextIndicesAndDimsPolicyINS7_14IndicesAndDimsILb0ELb0ELb0ELb0EEEEEEEE_Li64ENS_4expt15ForallParamPackIJEEEEEvT_T1_.has_recursion, 0
	.set _ZN4RAJA34launch_new_reduce_global_fcn_fixedIZN8rajaperf4apps14CONVECTION3DPA17runHipVariantImplILm64EEEvNS1_9VariantIDEEUlNS_14LaunchContextTINS_3hip33LaunchContextIndicesAndDimsPolicyINS7_14IndicesAndDimsILb0ELb0ELb0ELb0EEEEEEEE_Li64ENS_4expt15ForallParamPackIJEEEEEvT_T1_.has_indirect_call, 0
	.section	.AMDGPU.csdata,"",@progbits
; Kernel info:
; codeLenInByte = 1884
; TotalNumSgprs: 24
; NumVgprs: 30
; ScratchSize: 0
; MemoryBound: 0
; FloatMode: 240
; IeeeMode: 1
; LDSByteSize: 3072 bytes/workgroup (compile time only)
; SGPRBlocks: 12
; VGPRBlocks: 9
; NumSGPRsForWavesPerEU: 97
; NumVGPRsForWavesPerEU: 37
; Occupancy: 6
; WaveLimiterHint : 1
; COMPUTE_PGM_RSRC2:SCRATCH_EN: 0
; COMPUTE_PGM_RSRC2:USER_SGPR: 6
; COMPUTE_PGM_RSRC2:TRAP_HANDLER: 0
; COMPUTE_PGM_RSRC2:TGID_X_EN: 1
; COMPUTE_PGM_RSRC2:TGID_Y_EN: 0
; COMPUTE_PGM_RSRC2:TGID_Z_EN: 0
; COMPUTE_PGM_RSRC2:TIDIG_COMP_CNT: 2
	.section	.AMDGPU.gpr_maximums,"",@progbits
	.set amdgpu.max_num_vgpr, 0
	.set amdgpu.max_num_agpr, 0
	.set amdgpu.max_num_sgpr, 0
	.section	.AMDGPU.csdata,"",@progbits
	.type	__hip_cuid_c1a191062c25da5e,@object ; @__hip_cuid_c1a191062c25da5e
	.section	.bss,"aw",@nobits
	.globl	__hip_cuid_c1a191062c25da5e
__hip_cuid_c1a191062c25da5e:
	.byte	0                               ; 0x0
	.size	__hip_cuid_c1a191062c25da5e, 1

	.ident	"AMD clang version 22.0.0git (https://github.com/RadeonOpenCompute/llvm-project roc-7.2.4 26084 f58b06dce1f9c15707c5f808fd002e18c2accf7e)"
	.section	".note.GNU-stack","",@progbits
	.addrsig
	.addrsig_sym __hip_cuid_c1a191062c25da5e
	.amdgpu_metadata
---
amdhsa.kernels:
  - .args:
      - .address_space:  global
        .offset:         0
        .size:           8
        .value_kind:     global_buffer
      - .address_space:  global
        .offset:         8
        .size:           8
        .value_kind:     global_buffer
      - .address_space:  global
        .offset:         16
        .size:           8
        .value_kind:     global_buffer
      - .address_space:  global
        .offset:         24
        .size:           8
        .value_kind:     global_buffer
      - .address_space:  global
        .offset:         32
        .size:           8
        .value_kind:     global_buffer
      - .address_space:  global
        .offset:         40
        .size:           8
        .value_kind:     global_buffer
    .group_segment_fixed_size: 3072
    .kernarg_segment_align: 8
    .kernarg_segment_size: 48
    .language:       OpenCL C
    .language_version:
      - 2
      - 0
    .max_flat_workgroup_size: 64
    .name:           _ZN8rajaperf4apps14Convection3DPAILm64EEEvPdS2_S2_S2_S2_S2_
    .private_segment_fixed_size: 0
    .sgpr_count:     24
    .sgpr_spill_count: 0
    .symbol:         _ZN8rajaperf4apps14Convection3DPAILm64EEEvPdS2_S2_S2_S2_S2_.kd
    .uniform_work_group_size: 1
    .uses_dynamic_stack: false
    .vgpr_count:     30
    .vgpr_spill_count: 0
    .wavefront_size: 64
  - .args:
      - .offset:         0
        .size:           56
        .value_kind:     by_value
      - .offset:         56
        .size:           1
        .value_kind:     by_value
    .group_segment_fixed_size: 3072
    .kernarg_segment_align: 8
    .kernarg_segment_size: 60
    .language:       OpenCL C
    .language_version:
      - 2
      - 0
    .max_flat_workgroup_size: 64
    .name:           _ZN4RAJA34launch_new_reduce_global_fcn_fixedIZN8rajaperf4apps14CONVECTION3DPA17runHipVariantImplILm64EEEvNS1_9VariantIDEEUlNS_14LaunchContextTINS_3hip33LaunchContextIndicesAndDimsPolicyINS7_14IndicesAndDimsILb0ELb0ELb0ELb0EEEEEEEE_Li64ENS_4expt15ForallParamPackIJEEEEEvT_T1_
    .private_segment_fixed_size: 0
    .sgpr_count:     24
    .sgpr_spill_count: 0
    .symbol:         _ZN4RAJA34launch_new_reduce_global_fcn_fixedIZN8rajaperf4apps14CONVECTION3DPA17runHipVariantImplILm64EEEvNS1_9VariantIDEEUlNS_14LaunchContextTINS_3hip33LaunchContextIndicesAndDimsPolicyINS7_14IndicesAndDimsILb0ELb0ELb0ELb0EEEEEEEE_Li64ENS_4expt15ForallParamPackIJEEEEEvT_T1_.kd
    .uniform_work_group_size: 1
    .uses_dynamic_stack: false
    .vgpr_count:     30
    .vgpr_spill_count: 0
    .wavefront_size: 64
amdhsa.target:   amdgcn-amd-amdhsa--gfx906
amdhsa.version:
  - 1
  - 2
...

	.end_amdgpu_metadata
